;; amdgpu-corpus repo=zjin-lcf/HeCBench kind=compiled arch=gfx1250 opt=O3
	.amdgcn_target "amdgcn-amd-amdhsa--gfx1250"
	.amdhsa_code_object_version 6
	.text
	.protected	_Z9toCoef2DXPfjjj       ; -- Begin function _Z9toCoef2DXPfjjj
	.globl	_Z9toCoef2DXPfjjj
	.p2align	8
	.type	_Z9toCoef2DXPfjjj,@function
_Z9toCoef2DXPfjjj:                      ; @_Z9toCoef2DXPfjjj
; %bb.0:
	s_clause 0x1
	s_load_b32 s2, s[0:1], 0x24
	s_load_b96 s[4:6], s[0:1], 0x8
	s_bfe_u32 s3, ttmp6, 0x4000c
	s_and_b32 s7, ttmp6, 15
	s_add_co_i32 s3, s3, 1
	s_getreg_b32 s8, hwreg(HW_REG_IB_STS2, 6, 4)
	s_mul_i32 s3, ttmp9, s3
	s_delay_alu instid0(SALU_CYCLE_1) | instskip(SKIP_4) | instid1(SALU_CYCLE_1)
	s_add_co_i32 s7, s7, s3
	s_wait_kmcnt 0x0
	s_and_b32 s2, s2, 0xffff
	s_cmp_eq_u32 s8, 0
	s_cselect_b32 s3, ttmp9, s7
	v_mad_u32 v0, s3, s2, v0
	s_mov_b32 s2, exec_lo
	s_delay_alu instid0(VALU_DEP_1)
	v_cmpx_gt_u32_e64 s6, v0
	s_cbranch_execz .LBB0_10
; %bb.1:
	s_load_b64 s[0:1], s[0:1], 0x0
	v_mul_lo_u32 v0, v0, s4
	v_mov_b32_e32 v1, 0
	s_cmp_eq_u32 s5, 0
	s_wait_kmcnt 0x0
	global_load_b32 v4, v0, s[0:1]
	s_wait_xcnt 0x0
	v_add_nc_u64_e32 v[0:1], s[0:1], v[0:1]
	s_cbranch_scc1 .LBB0_4
; %bb.2:
	s_delay_alu instid0(VALU_DEP_1)
	v_mov_b64_e32 v[2:3], v[0:1]
	s_min_u32 s0, s5, 12
	s_mov_b32 s1, 0xbe8930a4
.LBB0_3:                                ; =>This Inner Loop Header: Depth=1
	global_load_b32 v5, v[2:3], off
	s_wait_xcnt 0x0
	v_add_nc_u64_e32 v[2:3], 4, v[2:3]
	s_add_co_i32 s0, s0, -1
	s_delay_alu instid0(SALU_CYCLE_1)
	s_cmp_lg_u32 s0, 0
	s_wait_loadcnt 0x0
	v_fmac_f32_e32 v4, s1, v5
	s_mul_f32 s1, s1, 0xbe8930a4
	s_cbranch_scc1 .LBB0_3
.LBB0_4:
	s_wait_loadcnt 0x0
	s_delay_alu instid0(VALU_DEP_1)
	v_mul_f32_e32 v3, 0x40bfffff, v4
	s_cmp_lt_u32 s5, 2
	global_store_b32 v[0:1], v3, off
	s_cbranch_scc1 .LBB0_7
; %bb.5:
	v_mov_b64_e32 v[4:5], 0x3e8930a440bfffff
	s_add_co_i32 s0, s5, -1
.LBB0_6:                                ; =>This Inner Loop Header: Depth=1
	global_load_b32 v2, v[0:1], off offset:4
	s_wait_xcnt 0x1
	v_mov_b64_e32 v[6:7], v[0:1]
	s_add_co_i32 s0, s0, -1
	s_delay_alu instid0(SALU_CYCLE_1) | instskip(SKIP_1) | instid1(VALU_DEP_1)
	s_cmp_eq_u32 s0, 0
	s_wait_xcnt 0x0
	v_add_nc_u64_e32 v[0:1], 4, v[6:7]
	s_wait_loadcnt 0x0
	v_pk_mul_f32 v[2:3], v[2:3], v[4:5]
	s_delay_alu instid0(VALU_DEP_1)
	v_sub_f32_e32 v3, v2, v3
	global_store_b32 v[6:7], v3, off offset:4
	s_cbranch_scc0 .LBB0_6
.LBB0_7:
	v_mul_f32_e32 v2, 0x3e58658d, v3
	s_add_co_i32 s0, s5, -2
	s_delay_alu instid0(SALU_CYCLE_1)
	s_cmp_lt_i32 s0, 0
	global_store_b32 v[0:1], v2, off
	s_cbranch_scc1 .LBB0_10
; %bb.8:
	s_wait_xcnt 0x0
	v_add_nc_u64_e32 v[0:1], -4, v[0:1]
	s_add_co_i32 s0, s5, -1
.LBB0_9:                                ; =>This Inner Loop Header: Depth=1
	global_load_b32 v3, v[0:1], off
	s_add_co_i32 s0, s0, -1
	s_delay_alu instid0(SALU_CYCLE_1) | instskip(SKIP_2) | instid1(VALU_DEP_1)
	s_cmp_lg_u32 s0, 0
	s_wait_loadcnt 0x0
	v_sub_f32_e32 v2, v2, v3
	v_mul_f32_e32 v2, 0xbe8930a4, v2
	global_store_b32 v[0:1], v2, off
	s_wait_xcnt 0x0
	v_add_nc_u64_e32 v[0:1], -4, v[0:1]
	s_cbranch_scc1 .LBB0_9
.LBB0_10:
	s_endpgm
	.section	.rodata,"a",@progbits
	.p2align	6, 0x0
	.amdhsa_kernel _Z9toCoef2DXPfjjj
		.amdhsa_group_segment_fixed_size 0
		.amdhsa_private_segment_fixed_size 0
		.amdhsa_kernarg_size 280
		.amdhsa_user_sgpr_count 2
		.amdhsa_user_sgpr_dispatch_ptr 0
		.amdhsa_user_sgpr_queue_ptr 0
		.amdhsa_user_sgpr_kernarg_segment_ptr 1
		.amdhsa_user_sgpr_dispatch_id 0
		.amdhsa_user_sgpr_kernarg_preload_length 0
		.amdhsa_user_sgpr_kernarg_preload_offset 0
		.amdhsa_user_sgpr_private_segment_size 0
		.amdhsa_wavefront_size32 1
		.amdhsa_uses_dynamic_stack 0
		.amdhsa_enable_private_segment 0
		.amdhsa_system_sgpr_workgroup_id_x 1
		.amdhsa_system_sgpr_workgroup_id_y 0
		.amdhsa_system_sgpr_workgroup_id_z 0
		.amdhsa_system_sgpr_workgroup_info 0
		.amdhsa_system_vgpr_workitem_id 0
		.amdhsa_next_free_vgpr 8
		.amdhsa_next_free_sgpr 9
		.amdhsa_named_barrier_count 0
		.amdhsa_reserve_vcc 0
		.amdhsa_float_round_mode_32 0
		.amdhsa_float_round_mode_16_64 0
		.amdhsa_float_denorm_mode_32 3
		.amdhsa_float_denorm_mode_16_64 3
		.amdhsa_fp16_overflow 0
		.amdhsa_memory_ordered 1
		.amdhsa_forward_progress 1
		.amdhsa_inst_pref_size 4
		.amdhsa_round_robin_scheduling 0
		.amdhsa_exception_fp_ieee_invalid_op 0
		.amdhsa_exception_fp_denorm_src 0
		.amdhsa_exception_fp_ieee_div_zero 0
		.amdhsa_exception_fp_ieee_overflow 0
		.amdhsa_exception_fp_ieee_underflow 0
		.amdhsa_exception_fp_ieee_inexact 0
		.amdhsa_exception_int_div_zero 0
	.end_amdhsa_kernel
	.text
.Lfunc_end0:
	.size	_Z9toCoef2DXPfjjj, .Lfunc_end0-_Z9toCoef2DXPfjjj
                                        ; -- End function
	.set _Z9toCoef2DXPfjjj.num_vgpr, 8
	.set _Z9toCoef2DXPfjjj.num_agpr, 0
	.set _Z9toCoef2DXPfjjj.numbered_sgpr, 9
	.set _Z9toCoef2DXPfjjj.num_named_barrier, 0
	.set _Z9toCoef2DXPfjjj.private_seg_size, 0
	.set _Z9toCoef2DXPfjjj.uses_vcc, 0
	.set _Z9toCoef2DXPfjjj.uses_flat_scratch, 0
	.set _Z9toCoef2DXPfjjj.has_dyn_sized_stack, 0
	.set _Z9toCoef2DXPfjjj.has_recursion, 0
	.set _Z9toCoef2DXPfjjj.has_indirect_call, 0
	.section	.AMDGPU.csdata,"",@progbits
; Kernel info:
; codeLenInByte = 468
; TotalNumSgprs: 9
; NumVgprs: 8
; ScratchSize: 0
; MemoryBound: 0
; FloatMode: 240
; IeeeMode: 1
; LDSByteSize: 0 bytes/workgroup (compile time only)
; SGPRBlocks: 0
; VGPRBlocks: 0
; NumSGPRsForWavesPerEU: 9
; NumVGPRsForWavesPerEU: 8
; NamedBarCnt: 0
; Occupancy: 16
; WaveLimiterHint : 0
; COMPUTE_PGM_RSRC2:SCRATCH_EN: 0
; COMPUTE_PGM_RSRC2:USER_SGPR: 2
; COMPUTE_PGM_RSRC2:TRAP_HANDLER: 0
; COMPUTE_PGM_RSRC2:TGID_X_EN: 1
; COMPUTE_PGM_RSRC2:TGID_Y_EN: 0
; COMPUTE_PGM_RSRC2:TGID_Z_EN: 0
; COMPUTE_PGM_RSRC2:TIDIG_COMP_CNT: 0
	.text
	.protected	_Z9toCoef2DYPfjjj       ; -- Begin function _Z9toCoef2DYPfjjj
	.globl	_Z9toCoef2DYPfjjj
	.p2align	8
	.type	_Z9toCoef2DYPfjjj,@function
_Z9toCoef2DYPfjjj:                      ; @_Z9toCoef2DYPfjjj
; %bb.0:
	s_clause 0x1
	s_load_b32 s2, s[0:1], 0x24
	s_load_b96 s[4:6], s[0:1], 0x8
	s_bfe_u32 s3, ttmp6, 0x4000c
	s_and_b32 s7, ttmp6, 15
	s_add_co_i32 s3, s3, 1
	s_getreg_b32 s8, hwreg(HW_REG_IB_STS2, 6, 4)
	s_mul_i32 s3, ttmp9, s3
	s_delay_alu instid0(SALU_CYCLE_1) | instskip(SKIP_4) | instid1(SALU_CYCLE_1)
	s_add_co_i32 s7, s7, s3
	s_wait_kmcnt 0x0
	s_and_b32 s2, s2, 0xffff
	s_cmp_eq_u32 s8, 0
	s_cselect_b32 s3, ttmp9, s7
	v_mad_u32 v0, s3, s2, v0
	s_mov_b32 s2, exec_lo
	s_delay_alu instid0(VALU_DEP_1)
	v_cmpx_gt_u32_e64 s5, v0
	s_cbranch_execz .LBB1_10
; %bb.1:
	s_load_b64 s[0:1], s[0:1], 0x0
	v_mov_b32_e32 v1, 0
	s_cmp_eq_u32 s6, 0
	s_wait_kmcnt 0x0
	global_load_b32 v4, v0, s[0:1] scale_offset
	s_wait_xcnt 0x0
	v_lshl_add_u64 v[0:1], v[0:1], 2, s[0:1]
	s_cbranch_scc1 .LBB1_4
; %bb.2:
	s_delay_alu instid0(VALU_DEP_1)
	v_mov_b64_e32 v[2:3], v[0:1]
	s_min_u32 s0, s6, 12
	s_ashr_i32 s5, s4, 31
	s_mov_b32 s1, 0xbe8930a4
.LBB1_3:                                ; =>This Inner Loop Header: Depth=1
	global_load_b32 v5, v[2:3], off
	s_wait_xcnt 0x0
	v_add_nc_u64_e32 v[2:3], s[4:5], v[2:3]
	s_add_co_i32 s0, s0, -1
	s_delay_alu instid0(SALU_CYCLE_1)
	s_cmp_lg_u32 s0, 0
	s_wait_loadcnt 0x0
	v_fmac_f32_e32 v4, s1, v5
	s_mul_f32 s1, s1, 0xbe8930a4
	s_cbranch_scc1 .LBB1_3
.LBB1_4:
	s_wait_loadcnt 0x0
	s_delay_alu instid0(VALU_DEP_1)
	v_mul_f32_e32 v3, 0x40bfffff, v4
	s_cmp_lt_u32 s6, 2
	global_store_b32 v[0:1], v3, off
	s_cbranch_scc1 .LBB1_7
; %bb.5:
	v_mov_b64_e32 v[4:5], 0x3e8930a440bfffff
	s_ashr_i32 s5, s4, 31
	s_add_co_i32 s0, s6, -1
.LBB1_6:                                ; =>This Inner Loop Header: Depth=1
	s_wait_xcnt 0x0
	v_add_nc_u64_e32 v[0:1], s[4:5], v[0:1]
	s_add_co_i32 s0, s0, -1
	s_delay_alu instid0(SALU_CYCLE_1) | instskip(SKIP_3) | instid1(VALU_DEP_1)
	s_cmp_eq_u32 s0, 0
	global_load_b32 v2, v[0:1], off
	s_wait_loadcnt 0x0
	v_pk_mul_f32 v[2:3], v[2:3], v[4:5]
	v_sub_f32_e32 v3, v2, v3
	global_store_b32 v[0:1], v3, off
	s_cbranch_scc0 .LBB1_6
.LBB1_7:
	v_mul_f32_e32 v2, 0x3e58658d, v3
	s_add_co_i32 s0, s6, -2
	s_delay_alu instid0(SALU_CYCLE_1)
	s_cmp_lt_i32 s0, 0
	global_store_b32 v[0:1], v2, off
	s_cbranch_scc1 .LBB1_10
; %bb.8:
	s_ashr_i32 s5, s4, 31
	s_add_co_i32 s2, s6, -1
	s_sub_nc_u64 s[0:1], 0, s[4:5]
	s_wait_xcnt 0x0
	v_add_nc_u64_e32 v[0:1], s[0:1], v[0:1]
.LBB1_9:                                ; =>This Inner Loop Header: Depth=1
	global_load_b32 v3, v[0:1], off
	s_add_co_i32 s2, s2, -1
	s_delay_alu instid0(SALU_CYCLE_1) | instskip(SKIP_2) | instid1(VALU_DEP_1)
	s_cmp_lg_u32 s2, 0
	s_wait_loadcnt 0x0
	v_sub_f32_e32 v2, v2, v3
	v_mul_f32_e32 v2, 0xbe8930a4, v2
	global_store_b32 v[0:1], v2, off
	s_wait_xcnt 0x0
	v_add_nc_u64_e32 v[0:1], s[0:1], v[0:1]
	s_cbranch_scc1 .LBB1_9
.LBB1_10:
	s_endpgm
	.section	.rodata,"a",@progbits
	.p2align	6, 0x0
	.amdhsa_kernel _Z9toCoef2DYPfjjj
		.amdhsa_group_segment_fixed_size 0
		.amdhsa_private_segment_fixed_size 0
		.amdhsa_kernarg_size 280
		.amdhsa_user_sgpr_count 2
		.amdhsa_user_sgpr_dispatch_ptr 0
		.amdhsa_user_sgpr_queue_ptr 0
		.amdhsa_user_sgpr_kernarg_segment_ptr 1
		.amdhsa_user_sgpr_dispatch_id 0
		.amdhsa_user_sgpr_kernarg_preload_length 0
		.amdhsa_user_sgpr_kernarg_preload_offset 0
		.amdhsa_user_sgpr_private_segment_size 0
		.amdhsa_wavefront_size32 1
		.amdhsa_uses_dynamic_stack 0
		.amdhsa_enable_private_segment 0
		.amdhsa_system_sgpr_workgroup_id_x 1
		.amdhsa_system_sgpr_workgroup_id_y 0
		.amdhsa_system_sgpr_workgroup_id_z 0
		.amdhsa_system_sgpr_workgroup_info 0
		.amdhsa_system_vgpr_workitem_id 0
		.amdhsa_next_free_vgpr 6
		.amdhsa_next_free_sgpr 9
		.amdhsa_named_barrier_count 0
		.amdhsa_reserve_vcc 0
		.amdhsa_float_round_mode_32 0
		.amdhsa_float_round_mode_16_64 0
		.amdhsa_float_denorm_mode_32 3
		.amdhsa_float_denorm_mode_16_64 3
		.amdhsa_fp16_overflow 0
		.amdhsa_memory_ordered 1
		.amdhsa_forward_progress 1
		.amdhsa_inst_pref_size 4
		.amdhsa_round_robin_scheduling 0
		.amdhsa_exception_fp_ieee_invalid_op 0
		.amdhsa_exception_fp_denorm_src 0
		.amdhsa_exception_fp_ieee_div_zero 0
		.amdhsa_exception_fp_ieee_overflow 0
		.amdhsa_exception_fp_ieee_underflow 0
		.amdhsa_exception_fp_ieee_inexact 0
		.amdhsa_exception_int_div_zero 0
	.end_amdhsa_kernel
	.text
.Lfunc_end1:
	.size	_Z9toCoef2DYPfjjj, .Lfunc_end1-_Z9toCoef2DYPfjjj
                                        ; -- End function
	.set _Z9toCoef2DYPfjjj.num_vgpr, 6
	.set _Z9toCoef2DYPfjjj.num_agpr, 0
	.set _Z9toCoef2DYPfjjj.numbered_sgpr, 9
	.set _Z9toCoef2DYPfjjj.num_named_barrier, 0
	.set _Z9toCoef2DYPfjjj.private_seg_size, 0
	.set _Z9toCoef2DYPfjjj.uses_vcc, 0
	.set _Z9toCoef2DYPfjjj.uses_flat_scratch, 0
	.set _Z9toCoef2DYPfjjj.has_dyn_sized_stack, 0
	.set _Z9toCoef2DYPfjjj.has_recursion, 0
	.set _Z9toCoef2DYPfjjj.has_indirect_call, 0
	.section	.AMDGPU.csdata,"",@progbits
; Kernel info:
; codeLenInByte = 468
; TotalNumSgprs: 9
; NumVgprs: 6
; ScratchSize: 0
; MemoryBound: 0
; FloatMode: 240
; IeeeMode: 1
; LDSByteSize: 0 bytes/workgroup (compile time only)
; SGPRBlocks: 0
; VGPRBlocks: 0
; NumSGPRsForWavesPerEU: 9
; NumVGPRsForWavesPerEU: 6
; NamedBarCnt: 0
; Occupancy: 16
; WaveLimiterHint : 0
; COMPUTE_PGM_RSRC2:SCRATCH_EN: 0
; COMPUTE_PGM_RSRC2:USER_SGPR: 2
; COMPUTE_PGM_RSRC2:TRAP_HANDLER: 0
; COMPUTE_PGM_RSRC2:TGID_X_EN: 1
; COMPUTE_PGM_RSRC2:TGID_Y_EN: 0
; COMPUTE_PGM_RSRC2:TGID_Z_EN: 0
; COMPUTE_PGM_RSRC2:TIDIG_COMP_CNT: 0
	.text
	.p2alignl 7, 3214868480
	.fill 96, 4, 3214868480
	.section	.AMDGPU.gpr_maximums,"",@progbits
	.set amdgpu.max_num_vgpr, 0
	.set amdgpu.max_num_agpr, 0
	.set amdgpu.max_num_sgpr, 0
	.text
	.type	__hip_cuid_c8d72fca7bb05018,@object ; @__hip_cuid_c8d72fca7bb05018
	.section	.bss,"aw",@nobits
	.globl	__hip_cuid_c8d72fca7bb05018
__hip_cuid_c8d72fca7bb05018:
	.byte	0                               ; 0x0
	.size	__hip_cuid_c8d72fca7bb05018, 1

	.ident	"AMD clang version 22.0.0git (https://github.com/RadeonOpenCompute/llvm-project roc-7.2.4 26084 f58b06dce1f9c15707c5f808fd002e18c2accf7e)"
	.section	".note.GNU-stack","",@progbits
	.addrsig
	.addrsig_sym __hip_cuid_c8d72fca7bb05018
	.amdgpu_metadata
---
amdhsa.kernels:
  - .args:
      - .address_space:  global
        .offset:         0
        .size:           8
        .value_kind:     global_buffer
      - .offset:         8
        .size:           4
        .value_kind:     by_value
      - .offset:         12
        .size:           4
        .value_kind:     by_value
      - .offset:         16
        .size:           4
        .value_kind:     by_value
      - .offset:         24
        .size:           4
        .value_kind:     hidden_block_count_x
      - .offset:         28
        .size:           4
        .value_kind:     hidden_block_count_y
      - .offset:         32
        .size:           4
        .value_kind:     hidden_block_count_z
      - .offset:         36
        .size:           2
        .value_kind:     hidden_group_size_x
      - .offset:         38
        .size:           2
        .value_kind:     hidden_group_size_y
      - .offset:         40
        .size:           2
        .value_kind:     hidden_group_size_z
      - .offset:         42
        .size:           2
        .value_kind:     hidden_remainder_x
      - .offset:         44
        .size:           2
        .value_kind:     hidden_remainder_y
      - .offset:         46
        .size:           2
        .value_kind:     hidden_remainder_z
      - .offset:         64
        .size:           8
        .value_kind:     hidden_global_offset_x
      - .offset:         72
        .size:           8
        .value_kind:     hidden_global_offset_y
      - .offset:         80
        .size:           8
        .value_kind:     hidden_global_offset_z
      - .offset:         88
        .size:           2
        .value_kind:     hidden_grid_dims
    .group_segment_fixed_size: 0
    .kernarg_segment_align: 8
    .kernarg_segment_size: 280
    .language:       OpenCL C
    .language_version:
      - 2
      - 0
    .max_flat_workgroup_size: 1024
    .name:           _Z9toCoef2DXPfjjj
    .private_segment_fixed_size: 0
    .sgpr_count:     9
    .sgpr_spill_count: 0
    .symbol:         _Z9toCoef2DXPfjjj.kd
    .uniform_work_group_size: 1
    .uses_dynamic_stack: false
    .vgpr_count:     8
    .vgpr_spill_count: 0
    .wavefront_size: 32
  - .args:
      - .address_space:  global
        .offset:         0
        .size:           8
        .value_kind:     global_buffer
      - .offset:         8
        .size:           4
        .value_kind:     by_value
      - .offset:         12
        .size:           4
        .value_kind:     by_value
      - .offset:         16
        .size:           4
        .value_kind:     by_value
      - .offset:         24
        .size:           4
        .value_kind:     hidden_block_count_x
      - .offset:         28
        .size:           4
        .value_kind:     hidden_block_count_y
      - .offset:         32
        .size:           4
        .value_kind:     hidden_block_count_z
      - .offset:         36
        .size:           2
        .value_kind:     hidden_group_size_x
      - .offset:         38
        .size:           2
        .value_kind:     hidden_group_size_y
      - .offset:         40
        .size:           2
        .value_kind:     hidden_group_size_z
      - .offset:         42
        .size:           2
        .value_kind:     hidden_remainder_x
      - .offset:         44
        .size:           2
        .value_kind:     hidden_remainder_y
      - .offset:         46
        .size:           2
        .value_kind:     hidden_remainder_z
      - .offset:         64
        .size:           8
        .value_kind:     hidden_global_offset_x
      - .offset:         72
        .size:           8
        .value_kind:     hidden_global_offset_y
      - .offset:         80
        .size:           8
        .value_kind:     hidden_global_offset_z
      - .offset:         88
        .size:           2
        .value_kind:     hidden_grid_dims
    .group_segment_fixed_size: 0
    .kernarg_segment_align: 8
    .kernarg_segment_size: 280
    .language:       OpenCL C
    .language_version:
      - 2
      - 0
    .max_flat_workgroup_size: 1024
    .name:           _Z9toCoef2DYPfjjj
    .private_segment_fixed_size: 0
    .sgpr_count:     9
    .sgpr_spill_count: 0
    .symbol:         _Z9toCoef2DYPfjjj.kd
    .uniform_work_group_size: 1
    .uses_dynamic_stack: false
    .vgpr_count:     6
    .vgpr_spill_count: 0
    .wavefront_size: 32
amdhsa.target:   amdgcn-amd-amdhsa--gfx1250
amdhsa.version:
  - 1
  - 2
...

	.end_amdgpu_metadata
